;; amdgpu-corpus repo=ROCm/rocFFT kind=compiled arch=gfx906 opt=O3
	.text
	.amdgcn_target "amdgcn-amd-amdhsa--gfx906"
	.amdhsa_code_object_version 6
	.protected	bluestein_single_fwd_len896_dim1_dp_op_CI_CI ; -- Begin function bluestein_single_fwd_len896_dim1_dp_op_CI_CI
	.globl	bluestein_single_fwd_len896_dim1_dp_op_CI_CI
	.p2align	8
	.type	bluestein_single_fwd_len896_dim1_dp_op_CI_CI,@function
bluestein_single_fwd_len896_dim1_dp_op_CI_CI: ; @bluestein_single_fwd_len896_dim1_dp_op_CI_CI
; %bb.0:
	s_load_dwordx4 s[16:19], s[4:5], 0x28
	v_mul_u32_u24_e32 v1, 0x24a, v0
	v_add_u32_sdwa v152, s6, v1 dst_sel:DWORD dst_unused:UNUSED_PAD src0_sel:DWORD src1_sel:WORD_1
	v_mov_b32_e32 v153, 0
	s_waitcnt lgkmcnt(0)
	v_cmp_gt_u64_e32 vcc, s[16:17], v[152:153]
	s_and_saveexec_b64 s[0:1], vcc
	s_cbranch_execz .LBB0_10
; %bb.1:
	s_load_dwordx4 s[0:3], s[4:5], 0x18
	s_load_dwordx4 s[12:15], s[4:5], 0x0
                                        ; implicit-def: $vgpr136_vgpr137
                                        ; implicit-def: $vgpr140_vgpr141
                                        ; implicit-def: $vgpr128_vgpr129
                                        ; implicit-def: $vgpr132_vgpr133
	s_waitcnt lgkmcnt(0)
	s_load_dwordx4 s[8:11], s[0:1], 0x0
	s_movk_i32 s0, 0x70
	v_mul_lo_u16_sdwa v1, v1, s0 dst_sel:DWORD dst_unused:UNUSED_PAD src0_sel:WORD_1 src1_sel:DWORD
	v_sub_u16_e32 v170, v0, v1
	v_lshlrev_b32_e32 v169, 4, v170
	s_waitcnt lgkmcnt(0)
	v_mad_u64_u32 v[0:1], s[6:7], s10, v152, 0
	v_mad_u64_u32 v[2:3], s[6:7], s8, v170, 0
	s_mul_i32 s1, s9, 0x1c00
	v_lshlrev_b32_e32 v172, 5, v170
	v_mad_u64_u32 v[4:5], s[6:7], s11, v152, v[1:2]
	v_and_b32_e32 v90, 1, v170
	v_and_b32_e32 v94, 7, v170
	v_mad_u64_u32 v[5:6], s[6:7], s9, v170, v[3:4]
	v_mov_b32_e32 v1, v4
	v_lshlrev_b64 v[0:1], 4, v[0:1]
	v_mov_b32_e32 v6, s19
	v_mov_b32_e32 v3, v5
	v_add_co_u32_e32 v4, vcc, s18, v0
	v_addc_co_u32_e32 v5, vcc, v6, v1, vcc
	v_lshlrev_b64 v[0:1], 4, v[2:3]
	v_mov_b32_e32 v2, s13
	v_add_co_u32_e32 v0, vcc, v4, v0
	v_addc_co_u32_e32 v1, vcc, v5, v1, vcc
	v_add_co_u32_e32 v64, vcc, s12, v169
	s_mul_hi_u32 s6, s8, 0x1c00
	v_addc_co_u32_e32 v65, vcc, 0, v2, vcc
	s_add_i32 s1, s6, s1
	s_mul_i32 s6, s8, 0x1c00
	v_mov_b32_e32 v2, s1
	v_add_co_u32_e32 v4, vcc, s6, v0
	v_addc_co_u32_e32 v5, vcc, v1, v2, vcc
	s_movk_i32 s7, 0x1000
	v_add_co_u32_e32 v20, vcc, s7, v64
	s_mul_i32 s7, s9, 0xffffeb00
	s_mul_hi_u32 s9, s8, 0xffffeb00
	s_sub_i32 s9, s9, s8
	v_addc_co_u32_e32 v21, vcc, 0, v65, vcc
	s_add_i32 s7, s9, s7
	s_mulk_i32 s8, 0xeb00
	global_load_dwordx4 v[32:35], v[0:1], off
	global_load_dwordx4 v[36:39], v[4:5], off
	v_mov_b32_e32 v6, s7
	v_add_co_u32_e32 v4, vcc, s8, v4
	global_load_dwordx4 v[0:3], v[20:21], off offset:3072
	v_addc_co_u32_e32 v5, vcc, v5, v6, vcc
	global_load_dwordx4 v[24:27], v169, s[12:13]
	global_load_dwordx4 v[16:19], v169, s[12:13] offset:1792
	v_mov_b32_e32 v7, s1
	v_add_co_u32_e32 v6, vcc, s6, v4
	v_addc_co_u32_e32 v7, vcc, v5, v7, vcc
	s_movk_i32 s9, 0x2000
	v_add_co_u32_e32 v12, vcc, s9, v64
	v_addc_co_u32_e32 v13, vcc, 0, v65, vcc
	global_load_dwordx4 v[40:43], v[4:5], off
	global_load_dwordx4 v[44:47], v[6:7], off
	v_mov_b32_e32 v5, s7
	v_add_co_u32_e32 v4, vcc, s8, v6
	v_addc_co_u32_e32 v5, vcc, v7, v5, vcc
	v_mov_b32_e32 v6, s1
	v_add_co_u32_e32 v14, vcc, s6, v4
	v_addc_co_u32_e32 v15, vcc, v5, v6, vcc
	global_load_dwordx4 v[48:51], v[4:5], off
	global_load_dwordx4 v[8:11], v169, s[12:13] offset:3584
	global_load_dwordx4 v[52:55], v[14:15], off
	global_load_dwordx4 v[28:31], v[12:13], off offset:768
	s_nop 0
	global_load_dwordx4 v[4:7], v[12:13], off offset:2560
	v_mov_b32_e32 v12, s7
	v_add_co_u32_e32 v22, vcc, s8, v14
	v_addc_co_u32_e32 v23, vcc, v15, v12, vcc
	global_load_dwordx4 v[56:59], v[22:23], off
	global_load_dwordx4 v[12:15], v[20:21], off offset:1280
	v_mov_b32_e32 v21, s1
	v_add_co_u32_e32 v20, vcc, s6, v22
	v_addc_co_u32_e32 v21, vcc, v23, v21, vcc
	s_movk_i32 s1, 0x3000
	global_load_dwordx4 v[60:63], v[20:21], off
	v_add_co_u32_e32 v20, vcc, s1, v64
	v_addc_co_u32_e32 v21, vcc, 0, v65, vcc
	global_load_dwordx4 v[20:23], v[20:21], off offset:256
	s_load_dwordx4 s[8:11], s[2:3], 0x0
	v_add_co_u32_e32 v144, vcc, s0, v170
	v_lshlrev_b32_e32 v173, 5, v144
	s_movk_i32 s0, 0xfc
	s_movk_i32 s1, 0x1fc
	;; [unrolled: 1-line block ×3, first 2 shown]
	v_lshlrev_b32_e32 v95, 4, v94
	v_and_b32_e32 v98, 15, v170
	v_lshlrev_b32_e32 v99, 4, v98
	v_and_b32_e32 v102, 31, v170
	;; [unrolled: 2-line block ×4, first 2 shown]
	s_movk_i32 s6, 0x380
	s_waitcnt vmcnt(13)
	v_mul_f64 v[68:69], v[38:39], v[2:3]
	v_mul_f64 v[70:71], v[36:37], v[2:3]
	s_waitcnt vmcnt(12)
	v_mul_f64 v[64:65], v[34:35], v[26:27]
	v_mul_f64 v[66:67], v[32:33], v[26:27]
	v_fma_f64 v[36:37], v[36:37], v[0:1], v[68:69]
	v_fma_f64 v[38:39], v[38:39], v[0:1], -v[70:71]
	v_fma_f64 v[32:33], v[32:33], v[24:25], v[64:65]
	v_fma_f64 v[34:35], v[34:35], v[24:25], -v[66:67]
	ds_write_b128 v169, v[32:35]
	ds_write_b128 v169, v[36:39] offset:7168
	s_waitcnt vmcnt(10)
	v_mul_f64 v[64:65], v[42:43], v[18:19]
	v_mul_f64 v[66:67], v[40:41], v[18:19]
	s_waitcnt vmcnt(5)
	v_mul_f64 v[68:69], v[46:47], v[30:31]
	v_mul_f64 v[70:71], v[44:45], v[30:31]
	v_fma_f64 v[32:33], v[40:41], v[16:17], v[64:65]
	v_fma_f64 v[34:35], v[42:43], v[16:17], -v[66:67]
	v_mul_f64 v[40:41], v[50:51], v[10:11]
	v_mul_f64 v[42:43], v[48:49], v[10:11]
	s_waitcnt vmcnt(2)
	v_mul_f64 v[64:65], v[58:59], v[14:15]
	v_mul_f64 v[66:67], v[56:57], v[14:15]
	v_fma_f64 v[36:37], v[44:45], v[28:29], v[68:69]
	v_fma_f64 v[38:39], v[46:47], v[28:29], -v[70:71]
	v_mul_f64 v[44:45], v[54:55], v[6:7]
	v_mul_f64 v[46:47], v[52:53], v[6:7]
	v_fma_f64 v[40:41], v[48:49], v[8:9], v[40:41]
	v_fma_f64 v[42:43], v[50:51], v[8:9], -v[42:43]
	v_fma_f64 v[48:49], v[56:57], v[12:13], v[64:65]
	v_fma_f64 v[50:51], v[58:59], v[12:13], -v[66:67]
	ds_write_b128 v169, v[32:35] offset:1792
	ds_write_b128 v169, v[36:39] offset:8960
	v_add_u32_e32 v57, 0xe0, v170
	s_waitcnt vmcnt(0)
	v_mul_f64 v[68:69], v[62:63], v[22:23]
	v_mul_f64 v[70:71], v[60:61], v[22:23]
	v_fma_f64 v[44:45], v[52:53], v[4:5], v[44:45]
	v_fma_f64 v[46:47], v[54:55], v[4:5], -v[46:47]
	ds_write_b128 v169, v[40:43] offset:3584
	ds_write_b128 v169, v[44:47] offset:10752
	v_fma_f64 v[52:53], v[60:61], v[20:21], v[68:69]
	v_fma_f64 v[54:55], v[62:63], v[20:21], -v[70:71]
	ds_write_b128 v169, v[48:51] offset:5376
	ds_write_b128 v169, v[52:55] offset:12544
	s_waitcnt lgkmcnt(0)
	s_barrier
	ds_read_b128 v[32:35], v169
	ds_read_b128 v[36:39], v169 offset:1792
	ds_read_b128 v[40:43], v169 offset:7168
	;; [unrolled: 1-line block ×7, first 2 shown]
	s_waitcnt lgkmcnt(5)
	v_add_f64 v[40:41], v[32:33], -v[40:41]
	v_add_f64 v[42:43], v[34:35], -v[42:43]
	s_waitcnt lgkmcnt(4)
	v_add_f64 v[44:45], v[36:37], -v[44:45]
	v_add_f64 v[46:47], v[38:39], -v[46:47]
	s_waitcnt lgkmcnt(1)
	v_add_f64 v[58:59], v[48:49], -v[58:59]
	v_add_f64 v[60:61], v[50:51], -v[60:61]
	s_waitcnt lgkmcnt(0)
	v_add_f64 v[62:63], v[52:53], -v[62:63]
	v_add_f64 v[64:65], v[54:55], -v[64:65]
	v_fma_f64 v[32:33], v[32:33], 2.0, -v[40:41]
	v_fma_f64 v[34:35], v[34:35], 2.0, -v[42:43]
	;; [unrolled: 1-line block ×8, first 2 shown]
	v_add_u32_e32 v56, 0x150, v170
	s_barrier
	ds_write_b128 v172, v[32:35]
	ds_write_b128 v172, v[40:43] offset:16
	v_lshlrev_b32_e32 v32, 4, v90
	ds_write_b128 v173, v[36:39]
	ds_write_b128 v173, v[44:47] offset:16
	v_lshlrev_b32_e32 v174, 5, v57
	ds_write_b128 v172, v[48:51] offset:7168
	ds_write_b128 v174, v[58:61] offset:16
	v_lshlrev_b32_e32 v176, 5, v56
	ds_write_b128 v172, v[52:55] offset:10752
	ds_write_b128 v176, v[62:65] offset:16
	s_waitcnt lgkmcnt(0)
	s_barrier
	global_load_dwordx4 v[32:35], v32, s[14:15]
	v_lshlrev_b32_e32 v61, 1, v170
	v_lshlrev_b32_e32 v58, 1, v144
	v_and_or_b32 v36, v61, s0, v90
	v_lshlrev_b32_e32 v171, 4, v36
	v_and_or_b32 v36, v58, s1, v90
	v_lshlrev_b32_e32 v175, 4, v36
	ds_read_b128 v[36:39], v169
	ds_read_b128 v[40:43], v169 offset:1792
	ds_read_b128 v[44:47], v169 offset:7168
	;; [unrolled: 1-line block ×7, first 2 shown]
	v_lshlrev_b32_e32 v60, 1, v56
	v_lshlrev_b32_e32 v59, 1, v57
	s_waitcnt vmcnt(0) lgkmcnt(0)
	s_barrier
	v_and_or_b32 v91, v59, s2, v90
	v_lshlrev_b32_e32 v177, 4, v91
	s_movk_i32 s0, 0xf8
	s_movk_i32 s1, 0x1f8
	v_and_b32_e32 v104, 31, v56
	v_and_b32_e32 v111, 63, v57
	;; [unrolled: 1-line block ×3, first 2 shown]
	v_mul_f64 v[74:75], v[46:47], v[34:35]
	v_mul_f64 v[76:77], v[44:45], v[34:35]
	;; [unrolled: 1-line block ×8, first 2 shown]
	v_fma_f64 v[44:45], v[44:45], v[32:33], -v[74:75]
	v_fma_f64 v[46:47], v[46:47], v[32:33], v[76:77]
	v_fma_f64 v[48:49], v[48:49], v[32:33], -v[78:79]
	v_fma_f64 v[50:51], v[50:51], v[32:33], v[80:81]
	;; [unrolled: 2-line block ×4, first 2 shown]
	v_add_f64 v[44:45], v[36:37], -v[44:45]
	v_add_f64 v[46:47], v[38:39], -v[46:47]
	;; [unrolled: 1-line block ×8, first 2 shown]
	v_fma_f64 v[36:37], v[36:37], 2.0, -v[44:45]
	v_fma_f64 v[38:39], v[38:39], 2.0, -v[46:47]
	;; [unrolled: 1-line block ×8, first 2 shown]
	ds_write_b128 v171, v[44:47] offset:32
	ds_write_b128 v171, v[36:39]
	ds_write_b128 v175, v[40:43]
	ds_write_b128 v175, v[48:51] offset:32
	v_and_or_b32 v36, v60, s2, v90
	v_lshlrev_b32_e32 v178, 4, v36
	v_and_b32_e32 v36, 3, v170
	v_lshlrev_b32_e32 v37, 4, v36
	ds_write_b128 v177, v[52:55]
	ds_write_b128 v177, v[66:69] offset:32
	ds_write_b128 v178, v[62:65]
	ds_write_b128 v178, v[70:73] offset:32
	s_waitcnt lgkmcnt(0)
	s_barrier
	global_load_dwordx4 v[40:43], v37, s[14:15] offset:32
	s_movk_i32 s2, 0x3f8
	v_and_or_b32 v37, v61, s0, v36
	v_lshlrev_b32_e32 v186, 4, v37
	v_and_or_b32 v37, v58, s1, v36
	v_and_or_b32 v38, v59, s2, v36
	;; [unrolled: 1-line block ×3, first 2 shown]
	v_lshlrev_b32_e32 v184, 4, v37
	v_lshlrev_b32_e32 v182, 4, v38
	;; [unrolled: 1-line block ×3, first 2 shown]
	ds_read_b128 v[36:39], v169
	ds_read_b128 v[44:47], v169 offset:1792
	ds_read_b128 v[48:51], v169 offset:7168
	;; [unrolled: 1-line block ×7, first 2 shown]
	s_waitcnt vmcnt(0) lgkmcnt(0)
	s_barrier
	s_movk_i32 s0, 0xf0
	s_movk_i32 s1, 0x1f0
	;; [unrolled: 1-line block ×3, first 2 shown]
	v_mul_f64 v[78:79], v[50:51], v[42:43]
	v_mul_f64 v[80:81], v[48:49], v[42:43]
	;; [unrolled: 1-line block ×8, first 2 shown]
	v_fma_f64 v[48:49], v[48:49], v[40:41], -v[78:79]
	v_fma_f64 v[50:51], v[50:51], v[40:41], v[80:81]
	v_fma_f64 v[52:53], v[52:53], v[40:41], -v[82:83]
	v_fma_f64 v[54:55], v[54:55], v[40:41], v[84:85]
	;; [unrolled: 2-line block ×4, first 2 shown]
	v_add_f64 v[48:49], v[36:37], -v[48:49]
	v_add_f64 v[50:51], v[38:39], -v[50:51]
	;; [unrolled: 1-line block ×8, first 2 shown]
	v_fma_f64 v[36:37], v[36:37], 2.0, -v[48:49]
	v_fma_f64 v[38:39], v[38:39], 2.0, -v[50:51]
	;; [unrolled: 1-line block ×8, first 2 shown]
	ds_write_b128 v186, v[48:51] offset:64
	ds_write_b128 v186, v[36:39]
	ds_write_b128 v184, v[44:47]
	ds_write_b128 v184, v[52:55] offset:64
	ds_write_b128 v182, v[62:65]
	ds_write_b128 v182, v[70:73] offset:64
	ds_write_b128 v180, v[66:69]
	ds_write_b128 v180, v[74:77] offset:64
	s_waitcnt lgkmcnt(0)
	s_barrier
	global_load_dwordx4 v[36:39], v95, s[14:15] offset:96
	v_and_or_b32 v44, v61, s0, v94
	v_lshlrev_b32_e32 v185, 4, v44
	v_and_or_b32 v44, v58, s1, v94
	v_and_or_b32 v45, v59, s2, v94
	;; [unrolled: 1-line block ×3, first 2 shown]
	v_lshlrev_b32_e32 v183, 4, v44
	v_lshlrev_b32_e32 v181, 4, v45
	;; [unrolled: 1-line block ×3, first 2 shown]
	ds_read_b128 v[44:47], v169
	ds_read_b128 v[48:51], v169 offset:1792
	ds_read_b128 v[52:55], v169 offset:7168
	;; [unrolled: 1-line block ×7, first 2 shown]
	s_waitcnt vmcnt(0) lgkmcnt(0)
	s_barrier
	s_movk_i32 s1, 0xe0
	s_movk_i32 s0, 0x1e0
	;; [unrolled: 1-line block ×3, first 2 shown]
	v_mul_f64 v[82:83], v[54:55], v[38:39]
	v_mul_f64 v[84:85], v[52:53], v[38:39]
	;; [unrolled: 1-line block ×8, first 2 shown]
	v_fma_f64 v[52:53], v[52:53], v[36:37], -v[82:83]
	v_fma_f64 v[54:55], v[54:55], v[36:37], v[84:85]
	v_fma_f64 v[62:63], v[62:63], v[36:37], -v[86:87]
	v_fma_f64 v[64:65], v[64:65], v[36:37], v[88:89]
	;; [unrolled: 2-line block ×4, first 2 shown]
	v_add_f64 v[52:53], v[44:45], -v[52:53]
	v_add_f64 v[54:55], v[46:47], -v[54:55]
	;; [unrolled: 1-line block ×8, first 2 shown]
	v_fma_f64 v[44:45], v[44:45], 2.0, -v[52:53]
	v_fma_f64 v[46:47], v[46:47], 2.0, -v[54:55]
	;; [unrolled: 1-line block ×8, first 2 shown]
	ds_write_b128 v185, v[52:55] offset:128
	ds_write_b128 v185, v[44:47]
	ds_write_b128 v183, v[48:51]
	ds_write_b128 v183, v[62:65] offset:128
	ds_write_b128 v181, v[66:69]
	ds_write_b128 v181, v[74:77] offset:128
	;; [unrolled: 2-line block ×3, first 2 shown]
	s_waitcnt lgkmcnt(0)
	s_barrier
	global_load_dwordx4 v[44:47], v99, s[14:15] offset:224
	v_and_or_b32 v48, v61, s1, v98
	v_lshlrev_b32_e32 v190, 4, v48
	v_and_or_b32 v48, v58, s0, v98
	v_and_or_b32 v49, v59, s2, v98
	;; [unrolled: 1-line block ×3, first 2 shown]
	v_lshlrev_b32_e32 v189, 4, v48
	v_lshlrev_b32_e32 v188, 4, v49
	;; [unrolled: 1-line block ×3, first 2 shown]
	ds_read_b128 v[48:51], v169 offset:7168
	ds_read_b128 v[52:55], v169 offset:8960
	ds_read_b128 v[62:65], v169
	ds_read_b128 v[66:69], v169 offset:1792
	ds_read_b128 v[70:73], v169 offset:10752
	;; [unrolled: 1-line block ×5, first 2 shown]
	s_waitcnt vmcnt(0) lgkmcnt(0)
	s_barrier
	s_movk_i32 s0, 0xc0
	s_movk_i32 s1, 0x1c0
	;; [unrolled: 1-line block ×3, first 2 shown]
	v_and_or_b32 v57, v59, s2, v102
	v_lshlrev_b32_e32 v196, 4, v57
	v_mul_f64 v[86:87], v[50:51], v[46:47]
	v_mul_f64 v[88:89], v[48:49], v[46:47]
	;; [unrolled: 1-line block ×8, first 2 shown]
	v_fma_f64 v[48:49], v[48:49], v[44:45], -v[86:87]
	v_fma_f64 v[50:51], v[50:51], v[44:45], v[88:89]
	v_fma_f64 v[52:53], v[52:53], v[44:45], -v[90:91]
	v_fma_f64 v[54:55], v[54:55], v[44:45], v[92:93]
	v_fma_f64 v[70:71], v[70:71], v[44:45], -v[94:95]
	v_fma_f64 v[72:73], v[72:73], v[44:45], v[96:97]
	v_fma_f64 v[74:75], v[74:75], v[44:45], -v[98:99]
	v_fma_f64 v[76:77], v[76:77], v[44:45], v[100:101]
	v_add_f64 v[48:49], v[62:63], -v[48:49]
	v_add_f64 v[50:51], v[64:65], -v[50:51]
	;; [unrolled: 1-line block ×8, first 2 shown]
	v_fma_f64 v[62:63], v[62:63], 2.0, -v[48:49]
	v_fma_f64 v[64:65], v[64:65], 2.0, -v[50:51]
	;; [unrolled: 1-line block ×8, first 2 shown]
	ds_write_b128 v190, v[48:51] offset:256
	ds_write_b128 v190, v[62:65]
	ds_write_b128 v189, v[66:69]
	ds_write_b128 v189, v[52:55] offset:256
	ds_write_b128 v188, v[78:81]
	ds_write_b128 v188, v[70:73] offset:256
	;; [unrolled: 2-line block ×3, first 2 shown]
	s_waitcnt lgkmcnt(0)
	s_barrier
	global_load_dwordx4 v[52:55], v103, s[14:15] offset:480
	v_lshlrev_b32_e32 v62, 4, v104
	global_load_dwordx4 v[48:51], v62, s[14:15] offset:480
	global_load_dwordx2 v[153:154], v62, s[14:15] offset:488
	v_and_b32_e32 v62, 31, v144
	v_lshlrev_b32_e32 v63, 4, v62
	global_load_dwordx2 v[155:156], v63, s[14:15] offset:480
	v_and_or_b32 v63, v61, s0, v102
	v_and_or_b32 v56, v58, s1, v62
	;; [unrolled: 1-line block ×3, first 2 shown]
	v_lshlrev_b32_e32 v198, 4, v63
	v_lshlrev_b32_e32 v197, 4, v56
	;; [unrolled: 1-line block ×3, first 2 shown]
	ds_read_b128 v[62:65], v169 offset:7168
	ds_read_b128 v[66:69], v169 offset:8960
	;; [unrolled: 1-line block ×4, first 2 shown]
	ds_read_b128 v[78:81], v169
	ds_read_b128 v[82:85], v169 offset:1792
	ds_read_b128 v[86:89], v169 offset:3584
	;; [unrolled: 1-line block ×3, first 2 shown]
	s_waitcnt vmcnt(0) lgkmcnt(0)
	s_barrier
	s_movk_i32 s0, 0x80
	s_movk_i32 s1, 0x180
	s_load_dwordx2 s[2:3], s[4:5], 0x38
	v_mul_f64 v[56:57], v[64:65], v[54:55]
	v_mul_f64 v[94:95], v[62:63], v[54:55]
	;; [unrolled: 1-line block ×8, first 2 shown]
	v_fma_f64 v[56:57], v[62:63], v[52:53], -v[56:57]
	v_fma_f64 v[64:65], v[64:65], v[52:53], v[94:95]
	v_fma_f64 v[66:67], v[66:67], v[155:156], -v[96:97]
	v_fma_f64 v[68:69], v[68:69], v[155:156], v[98:99]
	;; [unrolled: 2-line block ×4, first 2 shown]
	v_add_f64 v[62:63], v[78:79], -v[56:57]
	v_add_f64 v[64:65], v[80:81], -v[64:65]
	;; [unrolled: 1-line block ×8, first 2 shown]
	v_fma_f64 v[78:79], v[78:79], 2.0, -v[62:63]
	v_fma_f64 v[80:81], v[80:81], 2.0, -v[64:65]
	;; [unrolled: 1-line block ×8, first 2 shown]
	ds_write_b128 v198, v[62:65] offset:512
	ds_write_b128 v198, v[78:81]
	ds_write_b128 v197, v[82:85]
	ds_write_b128 v197, v[66:69] offset:512
	ds_write_b128 v196, v[86:89]
	ds_write_b128 v196, v[70:73] offset:512
	;; [unrolled: 2-line block ×3, first 2 shown]
	s_waitcnt lgkmcnt(0)
	s_barrier
	global_load_dwordx4 v[92:95], v109, s[14:15] offset:992
	v_lshlrev_b32_e32 v56, 4, v110
	global_load_dwordx4 v[84:87], v56, s[14:15] offset:992
	v_lshlrev_b32_e32 v56, 4, v111
	;; [unrolled: 2-line block ×3, first 2 shown]
	global_load_dwordx4 v[72:75], v56, s[14:15] offset:992
	v_and_or_b32 v56, v61, s0, v108
	v_lshlrev_b32_e32 v194, 4, v56
	v_and_or_b32 v56, v58, s1, v110
	v_and_or_b32 v57, v59, s6, v111
	;; [unrolled: 1-line block ×3, first 2 shown]
	v_lshlrev_b32_e32 v193, 4, v56
	v_lshlrev_b32_e32 v192, 4, v57
	;; [unrolled: 1-line block ×3, first 2 shown]
	ds_read_b128 v[56:59], v169 offset:7168
	ds_read_b128 v[60:63], v169 offset:8960
	;; [unrolled: 1-line block ×4, first 2 shown]
	ds_read_b128 v[76:79], v169
	ds_read_b128 v[88:91], v169 offset:1792
	ds_read_b128 v[96:99], v169 offset:3584
	;; [unrolled: 1-line block ×3, first 2 shown]
	s_waitcnt vmcnt(0) lgkmcnt(0)
	s_barrier
	v_cmp_gt_u16_e64 s[0:1], 16, v170
	v_mul_f64 v[104:105], v[58:59], v[94:95]
	v_mul_f64 v[106:107], v[56:57], v[94:95]
	;; [unrolled: 1-line block ×8, first 2 shown]
	v_fma_f64 v[56:57], v[56:57], v[92:93], -v[104:105]
	v_fma_f64 v[58:59], v[58:59], v[92:93], v[106:107]
	v_fma_f64 v[60:61], v[60:61], v[84:85], -v[108:109]
	v_fma_f64 v[62:63], v[62:63], v[84:85], v[110:111]
	;; [unrolled: 2-line block ×4, first 2 shown]
	v_add_f64 v[56:57], v[76:77], -v[56:57]
	v_add_f64 v[58:59], v[78:79], -v[58:59]
	;; [unrolled: 1-line block ×8, first 2 shown]
	v_fma_f64 v[68:69], v[76:77], 2.0, -v[56:57]
	v_fma_f64 v[70:71], v[78:79], 2.0, -v[58:59]
	;; [unrolled: 1-line block ×8, first 2 shown]
	ds_write_b128 v194, v[56:59] offset:1024
	ds_write_b128 v194, v[68:71]
	ds_write_b128 v193, v[76:79]
	ds_write_b128 v193, v[60:63] offset:1024
	ds_write_b128 v192, v[88:91]
	ds_write_b128 v192, v[64:67] offset:1024
	;; [unrolled: 2-line block ×3, first 2 shown]
	s_waitcnt lgkmcnt(0)
	s_barrier
	ds_read_b128 v[124:127], v169
	ds_read_b128 v[112:115], v169 offset:2048
	ds_read_b128 v[108:111], v169 offset:4096
	;; [unrolled: 1-line block ×6, first 2 shown]
                                        ; implicit-def: $vgpr76_vgpr77
                                        ; implicit-def: $vgpr116_vgpr117
	s_and_saveexec_b64 s[4:5], s[0:1]
	s_cbranch_execz .LBB0_3
; %bb.2:
	ds_read_b128 v[120:123], v169 offset:1792
	ds_read_b128 v[76:79], v169 offset:3840
	;; [unrolled: 1-line block ×7, first 2 shown]
.LBB0_3:
	s_or_b64 exec, exec, s[4:5]
	v_mov_b32_e32 v146, s15
	s_movk_i32 s6, 0x60
	v_mov_b32_e32 v145, s14
	v_mad_u64_u32 v[147:148], s[4:5], v170, s6, v[145:146]
	s_mov_b32 s16, 0xe976ee23
	global_load_dwordx4 v[88:91], v[147:148], off offset:2064
	global_load_dwordx4 v[96:99], v[147:148], off offset:2048
	;; [unrolled: 1-line block ×4, first 2 shown]
	s_mov_b32 s14, 0x429ad128
	s_mov_b32 s17, 0xbfe11646
	;; [unrolled: 1-line block ×15, first 2 shown]
	s_waitcnt vmcnt(0) lgkmcnt(5)
	v_mul_f64 v[149:150], v[114:115], v[106:107]
	v_fma_f64 v[163:164], v[112:113], v[104:105], -v[149:150]
	v_mul_f64 v[112:113], v[112:113], v[106:107]
	v_fma_f64 v[165:166], v[114:115], v[104:105], v[112:113]
	s_waitcnt lgkmcnt(4)
	v_mul_f64 v[112:113], v[110:111], v[102:103]
	v_fma_f64 v[167:168], v[108:109], v[100:101], -v[112:113]
	v_mul_f64 v[108:109], v[108:109], v[102:103]
	v_fma_f64 v[199:200], v[110:111], v[100:101], v[108:109]
	s_waitcnt lgkmcnt(3)
	v_mul_f64 v[108:109], v[70:71], v[98:99]
	v_fma_f64 v[201:202], v[68:69], v[96:97], -v[108:109]
	global_load_dwordx4 v[112:115], v[147:148], off offset:2096
	global_load_dwordx4 v[108:111], v[147:148], off offset:2080
	v_mul_f64 v[68:69], v[68:69], v[98:99]
	v_fma_f64 v[203:204], v[70:71], v[96:97], v[68:69]
	s_waitcnt lgkmcnt(2)
	v_mul_f64 v[68:69], v[66:67], v[90:91]
	v_fma_f64 v[205:206], v[64:65], v[88:89], -v[68:69]
	v_mul_f64 v[64:65], v[64:65], v[90:91]
	v_fma_f64 v[207:208], v[66:67], v[88:89], v[64:65]
	s_waitcnt vmcnt(0) lgkmcnt(1)
	v_mul_f64 v[64:65], v[62:63], v[110:111]
	v_fma_f64 v[209:210], v[60:61], v[108:109], -v[64:65]
	v_mul_f64 v[60:61], v[60:61], v[110:111]
	v_fma_f64 v[211:212], v[62:63], v[108:109], v[60:61]
	s_waitcnt lgkmcnt(0)
	v_mul_f64 v[60:61], v[58:59], v[114:115]
	v_fma_f64 v[213:214], v[56:57], v[112:113], -v[60:61]
	v_mul_f64 v[56:57], v[56:57], v[114:115]
	v_fma_f64 v[215:216], v[58:59], v[112:113], v[56:57]
	v_and_b32_e32 v56, 0x7f, v144
	v_mad_u64_u32 v[144:145], s[4:5], v56, s6, v[145:146]
	global_load_dwordx4 v[56:59], v[144:145], off offset:2064
	global_load_dwordx4 v[60:63], v[144:145], off offset:2048
	;; [unrolled: 1-line block ×4, first 2 shown]
	s_mov_b32 s4, 0x37e14327
	s_mov_b32 s6, 0x36b3c0b5
	;; [unrolled: 1-line block ×4, first 2 shown]
	s_waitcnt vmcnt(0)
	v_mul_f64 v[146:147], v[78:79], v[70:71]
	v_fma_f64 v[148:149], v[76:77], v[68:69], -v[146:147]
	v_mul_f64 v[76:77], v[76:77], v[70:71]
	v_add_f64 v[146:147], v[163:164], -v[213:214]
	v_fma_f64 v[159:160], v[78:79], v[68:69], v[76:77]
	v_mul_f64 v[76:77], v[118:119], v[66:67]
	v_fma_f64 v[150:151], v[116:117], v[64:65], -v[76:77]
	v_mul_f64 v[76:77], v[116:117], v[66:67]
	v_fma_f64 v[161:162], v[118:119], v[64:65], v[76:77]
	v_mul_f64 v[76:77], v[138:139], v[62:63]
	v_fma_f64 v[157:158], v[136:137], v[60:61], -v[76:77]
	v_mul_f64 v[76:77], v[136:137], v[62:63]
	v_fma_f64 v[136:137], v[138:139], v[60:61], v[76:77]
	v_mul_f64 v[76:77], v[142:143], v[58:59]
	v_fma_f64 v[138:139], v[140:141], v[56:57], -v[76:77]
	v_mul_f64 v[76:77], v[140:141], v[58:59]
	v_fma_f64 v[140:141], v[142:143], v[56:57], v[76:77]
	global_load_dwordx4 v[76:79], v[144:145], off offset:2096
	global_load_dwordx4 v[116:119], v[144:145], off offset:2080
	v_add_f64 v[144:145], v[165:166], v[215:216]
	s_waitcnt vmcnt(0)
	v_mul_f64 v[142:143], v[130:131], v[118:119]
	v_fma_f64 v[142:143], v[128:129], v[116:117], -v[142:143]
	v_mul_f64 v[128:129], v[128:129], v[118:119]
	v_fma_f64 v[128:129], v[130:131], v[116:117], v[128:129]
	v_mul_f64 v[130:131], v[134:135], v[78:79]
	v_fma_f64 v[130:131], v[132:133], v[76:77], -v[130:131]
	v_mul_f64 v[132:133], v[132:133], v[78:79]
	v_fma_f64 v[132:133], v[134:135], v[76:77], v[132:133]
	v_add_f64 v[134:135], v[163:164], v[213:214]
	v_add_f64 v[213:214], v[165:166], -v[215:216]
	v_add_f64 v[163:164], v[167:168], v[209:210]
	v_add_f64 v[165:166], v[199:200], v[211:212]
	v_add_f64 v[209:210], v[167:168], -v[209:210]
	v_add_f64 v[199:200], v[199:200], -v[211:212]
	v_add_f64 v[211:212], v[201:202], v[205:206]
	v_add_f64 v[215:216], v[203:204], v[207:208]
	v_add_f64 v[167:168], v[205:206], -v[201:202]
	;; [unrolled: 4-line block ×3, first 2 shown]
	v_add_f64 v[217:218], v[165:166], -v[144:145]
	v_add_f64 v[219:220], v[134:135], -v[211:212]
	;; [unrolled: 1-line block ×5, first 2 shown]
	v_add_f64 v[134:135], v[167:168], v[209:210]
	v_add_f64 v[144:145], v[201:202], v[199:200]
	v_add_f64 v[227:228], v[167:168], -v[209:210]
	v_add_f64 v[229:230], v[201:202], -v[199:200]
	;; [unrolled: 1-line block ×6, first 2 shown]
	v_add_f64 v[203:204], v[211:212], v[203:204]
	v_add_f64 v[205:206], v[215:216], v[205:206]
	v_add_f64 v[163:164], v[134:135], v[146:147]
	v_add_f64 v[134:135], v[144:145], v[213:214]
	v_mul_f64 v[209:210], v[223:224], s[6:7]
	v_mul_f64 v[211:212], v[225:226], s[6:7]
	;; [unrolled: 1-line block ×4, first 2 shown]
	v_add_f64 v[144:145], v[124:125], v[203:204]
	v_add_f64 v[146:147], v[126:127], v[205:206]
	v_mul_f64 v[124:125], v[219:220], s[4:5]
	v_mul_f64 v[126:127], v[221:222], s[4:5]
	;; [unrolled: 1-line block ×4, first 2 shown]
	v_fma_f64 v[209:210], v[207:208], s[20:21], -v[209:210]
	v_fma_f64 v[211:212], v[217:218], s[20:21], -v[211:212]
	v_fma_f64 v[203:204], v[203:204], s[18:19], v[144:145]
	v_fma_f64 v[205:206], v[205:206], s[18:19], v[146:147]
	;; [unrolled: 1-line block ×4, first 2 shown]
	v_fma_f64 v[124:125], v[207:208], s[22:23], -v[124:125]
	v_fma_f64 v[126:127], v[217:218], s[22:23], -v[126:127]
	v_fma_f64 v[207:208], v[165:166], s[24:25], v[213:214]
	v_fma_f64 v[217:218], v[167:168], s[24:25], v[215:216]
	v_fma_f64 v[201:202], v[201:202], s[14:15], -v[213:214]
	v_fma_f64 v[199:200], v[199:200], s[14:15], -v[215:216]
	;; [unrolled: 1-line block ×4, first 2 shown]
	v_add_f64 v[215:216], v[223:224], v[203:204]
	v_add_f64 v[209:210], v[209:210], v[203:204]
	;; [unrolled: 1-line block ×5, first 2 shown]
	v_fma_f64 v[221:222], v[163:164], s[28:29], v[207:208]
	v_fma_f64 v[217:218], v[134:135], s[28:29], v[217:218]
	;; [unrolled: 1-line block ×6, first 2 shown]
	v_add_f64 v[219:220], v[225:226], v[205:206]
	v_add_f64 v[163:164], v[217:218], v[215:216]
	;; [unrolled: 1-line block ×3, first 2 shown]
	v_add_f64 v[203:204], v[209:210], -v[207:208]
	v_add_f64 v[201:202], v[126:127], -v[223:224]
	v_add_f64 v[199:200], v[134:135], v[124:125]
	v_add_f64 v[207:208], v[207:208], v[209:210]
	v_add_f64 v[209:210], v[211:212], -v[213:214]
	v_add_f64 v[211:212], v[124:125], -v[134:135]
	v_add_f64 v[213:214], v[223:224], v[126:127]
	v_add_f64 v[124:125], v[148:149], v[130:131]
	;; [unrolled: 1-line block ×3, first 2 shown]
	v_add_f64 v[130:131], v[148:149], -v[130:131]
	v_add_f64 v[134:135], v[150:151], v[142:143]
	v_add_f64 v[148:149], v[161:162], v[128:129]
	v_add_f64 v[132:133], v[159:160], -v[132:133]
	v_add_f64 v[142:143], v[150:151], -v[142:143]
	;; [unrolled: 1-line block ×3, first 2 shown]
	v_add_f64 v[150:151], v[157:158], v[138:139]
	v_add_f64 v[159:160], v[136:137], v[140:141]
	v_add_f64 v[138:139], v[138:139], -v[157:158]
	v_add_f64 v[136:137], v[140:141], -v[136:137]
	v_add_f64 v[140:141], v[134:135], v[124:125]
	v_add_f64 v[157:158], v[148:149], v[126:127]
	v_add_f64 v[165:166], v[219:220], -v[221:222]
	v_add_f64 v[215:216], v[215:216], -v[217:218]
	v_add_f64 v[217:218], v[221:222], v[219:220]
	v_add_f64 v[161:162], v[134:135], -v[124:125]
	v_add_f64 v[167:168], v[148:149], -v[126:127]
	;; [unrolled: 1-line block ×6, first 2 shown]
	v_add_f64 v[148:149], v[138:139], v[142:143]
	v_add_f64 v[221:222], v[136:137], v[128:129]
	v_add_f64 v[223:224], v[138:139], -v[142:143]
	v_add_f64 v[225:226], v[136:137], -v[128:129]
	;; [unrolled: 1-line block ×4, first 2 shown]
	v_add_f64 v[140:141], v[150:151], v[140:141]
	v_add_f64 v[157:158], v[159:160], v[157:158]
	v_add_f64 v[138:139], v[130:131], -v[138:139]
	v_add_f64 v[136:137], v[132:133], -v[136:137]
	v_add_f64 v[130:131], v[148:149], v[130:131]
	v_add_f64 v[132:133], v[221:222], v[132:133]
	v_mul_f64 v[159:160], v[223:224], s[16:17]
	v_mul_f64 v[221:222], v[225:226], s[16:17]
	v_add_f64 v[148:149], v[120:121], v[140:141]
	v_add_f64 v[150:151], v[122:123], v[157:158]
	v_mul_f64 v[120:121], v[124:125], s[4:5]
	v_mul_f64 v[122:123], v[126:127], s[4:5]
	;; [unrolled: 1-line block ×6, first 2 shown]
	v_fma_f64 v[140:141], v[140:141], s[18:19], v[148:149]
	v_fma_f64 v[157:158], v[157:158], s[18:19], v[150:151]
	;; [unrolled: 1-line block ×4, first 2 shown]
	v_fma_f64 v[124:125], v[161:162], s[20:21], -v[124:125]
	v_fma_f64 v[126:127], v[167:168], s[20:21], -v[126:127]
	;; [unrolled: 1-line block ×4, first 2 shown]
	v_fma_f64 v[161:162], v[138:139], s[24:25], v[159:160]
	v_fma_f64 v[167:168], v[136:137], s[24:25], v[221:222]
	v_fma_f64 v[142:143], v[142:143], s[14:15], -v[159:160]
	v_fma_f64 v[128:129], v[128:129], s[14:15], -v[221:222]
	;; [unrolled: 1-line block ×4, first 2 shown]
	v_add_f64 v[159:160], v[134:135], v[140:141]
	v_add_f64 v[219:220], v[219:220], v[157:158]
	;; [unrolled: 1-line block ×6, first 2 shown]
	v_fma_f64 v[161:162], v[130:131], s[28:29], v[161:162]
	v_fma_f64 v[167:168], v[132:133], s[28:29], v[167:168]
	;; [unrolled: 1-line block ×6, first 2 shown]
	ds_write_b128 v169, v[144:147]
	ds_write_b128 v169, v[163:166] offset:2048
	ds_write_b128 v169, v[199:202] offset:4096
	;; [unrolled: 1-line block ×6, first 2 shown]
	v_add_f64 v[122:123], v[219:220], -v[161:162]
	v_add_f64 v[120:121], v[167:168], v[159:160]
	v_add_f64 v[130:131], v[142:143], v[221:222]
	v_add_f64 v[128:129], v[134:135], -v[223:224]
	v_add_f64 v[126:127], v[157:158], -v[138:139]
	v_add_f64 v[124:125], v[136:137], v[140:141]
	v_add_f64 v[132:133], v[223:224], v[134:135]
	v_add_f64 v[134:135], v[221:222], -v[142:143]
	v_add_f64 v[136:137], v[140:141], -v[136:137]
	v_add_f64 v[138:139], v[138:139], v[157:158]
	v_add_f64 v[140:141], v[159:160], -v[167:168]
	v_add_f64 v[142:143], v[161:162], v[219:220]
	s_and_saveexec_b64 s[4:5], s[0:1]
	s_cbranch_execz .LBB0_5
; %bb.4:
	ds_write_b128 v169, v[148:151] offset:1792
	ds_write_b128 v169, v[120:123] offset:3840
	;; [unrolled: 1-line block ×7, first 2 shown]
.LBB0_5:
	s_or_b64 exec, exec, s[4:5]
	v_lshlrev_b32_e32 v144, 4, v170
	v_add_co_u32_e32 v165, vcc, s12, v144
	v_mov_b32_e32 v144, s13
	v_addc_co_u32_e32 v166, vcc, 0, v144, vcc
	s_movk_i32 s4, 0x3800
	v_add_co_u32_e32 v161, vcc, s4, v165
	v_addc_co_u32_e32 v162, vcc, 0, v166, vcc
	s_movk_i32 s4, 0x3000
	v_add_co_u32_e32 v148, vcc, s4, v165
	v_addc_co_u32_e32 v149, vcc, 0, v166, vcc
	s_waitcnt lgkmcnt(0)
	s_barrier
	global_load_dwordx4 v[148:151], v[148:149], off offset:2048
	ds_read_b128 v[144:147], v169
	s_movk_i32 s4, 0x5000
	v_add_co_u32_e32 v163, vcc, s4, v165
	v_addc_co_u32_e32 v164, vcc, 0, v166, vcc
	s_movk_i32 s4, 0x6000
	s_waitcnt vmcnt(0) lgkmcnt(0)
	v_mul_f64 v[157:158], v[146:147], v[150:151]
	v_fma_f64 v[157:158], v[144:145], v[148:149], -v[157:158]
	v_mul_f64 v[144:145], v[144:145], v[150:151]
	v_fma_f64 v[159:160], v[146:147], v[148:149], v[144:145]
	global_load_dwordx4 v[148:151], v[163:164], off offset:1024
	ds_read_b128 v[144:147], v169 offset:7168
	ds_write_b128 v169, v[157:160]
	s_waitcnt vmcnt(0) lgkmcnt(1)
	v_mul_f64 v[157:158], v[146:147], v[150:151]
	v_fma_f64 v[157:158], v[144:145], v[148:149], -v[157:158]
	v_mul_f64 v[144:145], v[144:145], v[150:151]
	v_fma_f64 v[159:160], v[146:147], v[148:149], v[144:145]
	global_load_dwordx4 v[148:151], v[161:162], off offset:1792
	ds_read_b128 v[144:147], v169 offset:1792
	ds_write_b128 v169, v[157:160] offset:7168
	s_waitcnt vmcnt(0) lgkmcnt(1)
	v_mul_f64 v[157:158], v[146:147], v[150:151]
	v_fma_f64 v[157:158], v[144:145], v[148:149], -v[157:158]
	v_mul_f64 v[144:145], v[144:145], v[150:151]
	v_fma_f64 v[159:160], v[146:147], v[148:149], v[144:145]
	global_load_dwordx4 v[148:151], v[163:164], off offset:2816
	ds_read_b128 v[144:147], v169 offset:8960
	ds_write_b128 v169, v[157:160] offset:1792
	s_waitcnt vmcnt(0) lgkmcnt(1)
	v_mul_f64 v[157:158], v[146:147], v[150:151]
	v_fma_f64 v[157:158], v[144:145], v[148:149], -v[157:158]
	v_mul_f64 v[144:145], v[144:145], v[150:151]
	v_fma_f64 v[159:160], v[146:147], v[148:149], v[144:145]
	global_load_dwordx4 v[148:151], v[161:162], off offset:3584
	ds_read_b128 v[144:147], v169 offset:3584
	v_add_co_u32_e32 v161, vcc, s4, v165
	v_addc_co_u32_e32 v162, vcc, 0, v166, vcc
	s_movk_i32 s4, 0x4000
	ds_write_b128 v169, v[157:160] offset:8960
	s_waitcnt vmcnt(0) lgkmcnt(1)
	v_mul_f64 v[157:158], v[146:147], v[150:151]
	v_fma_f64 v[157:158], v[144:145], v[148:149], -v[157:158]
	v_mul_f64 v[144:145], v[144:145], v[150:151]
	v_fma_f64 v[159:160], v[146:147], v[148:149], v[144:145]
	global_load_dwordx4 v[148:151], v[161:162], off offset:512
	ds_read_b128 v[144:147], v169 offset:10752
	ds_write_b128 v169, v[157:160] offset:3584
	s_waitcnt vmcnt(0) lgkmcnt(1)
	v_mul_f64 v[157:158], v[146:147], v[150:151]
	v_fma_f64 v[157:158], v[144:145], v[148:149], -v[157:158]
	v_mul_f64 v[144:145], v[144:145], v[150:151]
	v_fma_f64 v[159:160], v[146:147], v[148:149], v[144:145]
	v_add_co_u32_e32 v148, vcc, s4, v165
	v_addc_co_u32_e32 v149, vcc, 0, v166, vcc
	global_load_dwordx4 v[148:151], v[148:149], off offset:3328
	ds_read_b128 v[144:147], v169 offset:5376
	ds_write_b128 v169, v[157:160] offset:10752
	s_waitcnt vmcnt(0) lgkmcnt(1)
	v_mul_f64 v[157:158], v[146:147], v[150:151]
	v_fma_f64 v[157:158], v[144:145], v[148:149], -v[157:158]
	v_mul_f64 v[144:145], v[144:145], v[150:151]
	v_fma_f64 v[159:160], v[146:147], v[148:149], v[144:145]
	global_load_dwordx4 v[148:151], v[161:162], off offset:2304
	ds_read_b128 v[144:147], v169 offset:12544
	ds_write_b128 v169, v[157:160] offset:5376
	s_waitcnt vmcnt(0) lgkmcnt(1)
	v_mul_f64 v[157:158], v[146:147], v[150:151]
	v_fma_f64 v[157:158], v[144:145], v[148:149], -v[157:158]
	v_mul_f64 v[144:145], v[144:145], v[150:151]
	v_fma_f64 v[159:160], v[146:147], v[148:149], v[144:145]
	ds_write_b128 v169, v[157:160] offset:12544
	s_waitcnt lgkmcnt(0)
	s_barrier
	ds_read_b128 v[144:147], v169
	ds_read_b128 v[148:151], v169 offset:7168
	ds_read_b128 v[157:160], v169 offset:1792
	;; [unrolled: 1-line block ×7, first 2 shown]
	s_waitcnt lgkmcnt(6)
	v_add_f64 v[148:149], v[144:145], -v[148:149]
	v_add_f64 v[150:151], v[146:147], -v[150:151]
	s_waitcnt lgkmcnt(4)
	v_add_f64 v[161:162], v[157:158], -v[161:162]
	v_add_f64 v[163:164], v[159:160], -v[163:164]
	;; [unrolled: 3-line block ×4, first 2 shown]
	v_fma_f64 v[144:145], v[144:145], 2.0, -v[148:149]
	v_fma_f64 v[146:147], v[146:147], 2.0, -v[150:151]
	;; [unrolled: 1-line block ×8, first 2 shown]
	s_barrier
	ds_write_b128 v172, v[144:147]
	ds_write_b128 v172, v[148:151] offset:16
	ds_write_b128 v173, v[157:160]
	ds_write_b128 v173, v[161:164] offset:16
	ds_write_b128 v174, v[165:168]
	ds_write_b128 v174, v[199:202] offset:16
	ds_write_b128 v176, v[203:206]
	ds_write_b128 v176, v[207:210] offset:16
	s_waitcnt lgkmcnt(0)
	s_barrier
	ds_read_b128 v[144:147], v169
	ds_read_b128 v[148:151], v169 offset:7168
	ds_read_b128 v[157:160], v169 offset:1792
	ds_read_b128 v[161:164], v169 offset:8960
	ds_read_b128 v[165:168], v169 offset:3584
	ds_read_b128 v[199:202], v169 offset:10752
	ds_read_b128 v[203:206], v169 offset:5376
	ds_read_b128 v[207:210], v169 offset:12544
	s_waitcnt lgkmcnt(6)
	v_mul_f64 v[172:173], v[34:35], v[150:151]
	s_waitcnt lgkmcnt(0)
	s_barrier
	v_fma_f64 v[172:173], v[32:33], v[148:149], v[172:173]
	v_mul_f64 v[148:149], v[34:35], v[148:149]
	v_fma_f64 v[148:149], v[32:33], v[150:151], -v[148:149]
	v_mul_f64 v[150:151], v[34:35], v[163:164]
	v_fma_f64 v[150:151], v[32:33], v[161:162], v[150:151]
	v_mul_f64 v[161:162], v[34:35], v[161:162]
	v_fma_f64 v[161:162], v[32:33], v[163:164], -v[161:162]
	v_mul_f64 v[163:164], v[34:35], v[201:202]
	v_fma_f64 v[163:164], v[32:33], v[199:200], v[163:164]
	v_mul_f64 v[199:200], v[34:35], v[199:200]
	v_fma_f64 v[199:200], v[32:33], v[201:202], -v[199:200]
	v_mul_f64 v[201:202], v[34:35], v[209:210]
	v_mul_f64 v[34:35], v[34:35], v[207:208]
	v_fma_f64 v[201:202], v[32:33], v[207:208], v[201:202]
	v_fma_f64 v[207:208], v[32:33], v[209:210], -v[34:35]
	v_add_f64 v[32:33], v[144:145], -v[172:173]
	v_add_f64 v[34:35], v[146:147], -v[148:149]
	v_add_f64 v[148:149], v[157:158], -v[150:151]
	v_add_f64 v[150:151], v[159:160], -v[161:162]
	v_add_f64 v[161:162], v[165:166], -v[163:164]
	v_add_f64 v[163:164], v[167:168], -v[199:200]
	v_add_f64 v[199:200], v[203:204], -v[201:202]
	v_add_f64 v[201:202], v[205:206], -v[207:208]
	v_fma_f64 v[144:145], v[144:145], 2.0, -v[32:33]
	v_fma_f64 v[146:147], v[146:147], 2.0, -v[34:35]
	v_fma_f64 v[157:158], v[157:158], 2.0, -v[148:149]
	v_fma_f64 v[159:160], v[159:160], 2.0, -v[150:151]
	v_fma_f64 v[165:166], v[165:166], 2.0, -v[161:162]
	v_fma_f64 v[167:168], v[167:168], 2.0, -v[163:164]
	v_fma_f64 v[203:204], v[203:204], 2.0, -v[199:200]
	v_fma_f64 v[205:206], v[205:206], 2.0, -v[201:202]
	ds_write_b128 v171, v[144:147]
	ds_write_b128 v171, v[32:35] offset:32
	ds_write_b128 v175, v[157:160]
	ds_write_b128 v175, v[148:151] offset:32
	ds_write_b128 v177, v[165:168]
	ds_write_b128 v177, v[161:164] offset:32
	ds_write_b128 v178, v[203:206]
	ds_write_b128 v178, v[199:202] offset:32
	s_waitcnt lgkmcnt(0)
	s_barrier
	ds_read_b128 v[32:35], v169
	ds_read_b128 v[144:147], v169 offset:7168
	ds_read_b128 v[148:151], v169 offset:1792
	ds_read_b128 v[157:160], v169 offset:8960
	ds_read_b128 v[161:164], v169 offset:3584
	ds_read_b128 v[165:168], v169 offset:10752
	ds_read_b128 v[171:174], v169 offset:5376
	ds_read_b128 v[175:178], v169 offset:12544
	s_waitcnt lgkmcnt(6)
	v_mul_f64 v[199:200], v[42:43], v[146:147]
	s_waitcnt lgkmcnt(0)
	s_barrier
	v_fma_f64 v[199:200], v[40:41], v[144:145], v[199:200]
	v_mul_f64 v[144:145], v[42:43], v[144:145]
	v_fma_f64 v[144:145], v[40:41], v[146:147], -v[144:145]
	v_mul_f64 v[146:147], v[42:43], v[159:160]
	v_fma_f64 v[146:147], v[40:41], v[157:158], v[146:147]
	v_mul_f64 v[157:158], v[42:43], v[157:158]
	v_fma_f64 v[157:158], v[40:41], v[159:160], -v[157:158]
	v_mul_f64 v[159:160], v[42:43], v[167:168]
	v_fma_f64 v[159:160], v[40:41], v[165:166], v[159:160]
	v_mul_f64 v[165:166], v[42:43], v[165:166]
	v_fma_f64 v[165:166], v[40:41], v[167:168], -v[165:166]
	v_mul_f64 v[167:168], v[42:43], v[177:178]
	v_mul_f64 v[42:43], v[42:43], v[175:176]
	v_fma_f64 v[167:168], v[40:41], v[175:176], v[167:168]
	v_fma_f64 v[175:176], v[40:41], v[177:178], -v[42:43]
	v_add_f64 v[40:41], v[32:33], -v[199:200]
	v_add_f64 v[42:43], v[34:35], -v[144:145]
	v_add_f64 v[144:145], v[148:149], -v[146:147]
	v_add_f64 v[146:147], v[150:151], -v[157:158]
	v_add_f64 v[157:158], v[161:162], -v[159:160]
	v_add_f64 v[159:160], v[163:164], -v[165:166]
	v_add_f64 v[165:166], v[171:172], -v[167:168]
	v_add_f64 v[167:168], v[173:174], -v[175:176]
	v_fma_f64 v[32:33], v[32:33], 2.0, -v[40:41]
	v_fma_f64 v[34:35], v[34:35], 2.0, -v[42:43]
	v_fma_f64 v[148:149], v[148:149], 2.0, -v[144:145]
	v_fma_f64 v[150:151], v[150:151], 2.0, -v[146:147]
	v_fma_f64 v[161:162], v[161:162], 2.0, -v[157:158]
	v_fma_f64 v[163:164], v[163:164], 2.0, -v[159:160]
	v_fma_f64 v[171:172], v[171:172], 2.0, -v[165:166]
	v_fma_f64 v[173:174], v[173:174], 2.0, -v[167:168]
	;; [unrolled: 53-line block ×3, first 2 shown]
	ds_write_b128 v185, v[32:35]
	ds_write_b128 v185, v[36:39] offset:128
	ds_write_b128 v183, v[144:147]
	ds_write_b128 v183, v[40:43] offset:128
	;; [unrolled: 2-line block ×4, first 2 shown]
	s_waitcnt lgkmcnt(0)
	s_barrier
	ds_read_b128 v[32:35], v169
	ds_read_b128 v[36:39], v169 offset:7168
	ds_read_b128 v[40:43], v169 offset:1792
	;; [unrolled: 1-line block ×7, first 2 shown]
	s_waitcnt lgkmcnt(6)
	v_mul_f64 v[171:172], v[46:47], v[38:39]
	s_waitcnt lgkmcnt(0)
	s_barrier
	v_fma_f64 v[171:172], v[44:45], v[36:37], v[171:172]
	v_mul_f64 v[36:37], v[46:47], v[36:37]
	v_fma_f64 v[38:39], v[44:45], v[38:39], -v[36:37]
	v_mul_f64 v[36:37], v[46:47], v[146:147]
	v_add_f64 v[38:39], v[34:35], -v[38:39]
	v_fma_f64 v[173:174], v[44:45], v[144:145], v[36:37]
	v_mul_f64 v[36:37], v[46:47], v[144:145]
	v_fma_f64 v[34:35], v[34:35], 2.0, -v[38:39]
	v_fma_f64 v[144:145], v[44:45], v[146:147], -v[36:37]
	v_mul_f64 v[36:37], v[46:47], v[159:160]
	v_fma_f64 v[146:147], v[44:45], v[157:158], v[36:37]
	v_mul_f64 v[36:37], v[46:47], v[157:158]
	v_fma_f64 v[157:158], v[44:45], v[159:160], -v[36:37]
	v_mul_f64 v[36:37], v[46:47], v[167:168]
	v_fma_f64 v[159:160], v[44:45], v[165:166], v[36:37]
	v_mul_f64 v[36:37], v[46:47], v[165:166]
	v_add_f64 v[46:47], v[42:43], -v[144:145]
	v_add_f64 v[144:145], v[148:149], -v[146:147]
	;; [unrolled: 1-line block ×4, first 2 shown]
	v_fma_f64 v[165:166], v[44:45], v[167:168], -v[36:37]
	v_add_f64 v[36:37], v[32:33], -v[171:172]
	v_add_f64 v[44:45], v[40:41], -v[173:174]
	v_fma_f64 v[42:43], v[42:43], 2.0, -v[46:47]
	v_fma_f64 v[148:149], v[148:149], 2.0, -v[144:145]
	;; [unrolled: 1-line block ×4, first 2 shown]
	v_add_f64 v[159:160], v[163:164], -v[165:166]
	v_fma_f64 v[32:33], v[32:33], 2.0, -v[36:37]
	v_fma_f64 v[40:41], v[40:41], 2.0, -v[44:45]
	v_fma_f64 v[163:164], v[163:164], 2.0, -v[159:160]
	ds_write_b128 v190, v[32:35]
	ds_write_b128 v190, v[36:39] offset:256
	ds_write_b128 v189, v[40:43]
	ds_write_b128 v189, v[44:47] offset:256
	;; [unrolled: 2-line block ×4, first 2 shown]
	s_waitcnt lgkmcnt(0)
	s_barrier
	ds_read_b128 v[32:35], v169
	ds_read_b128 v[36:39], v169 offset:7168
	ds_read_b128 v[40:43], v169 offset:1792
	;; [unrolled: 1-line block ×7, first 2 shown]
	s_waitcnt lgkmcnt(6)
	v_mul_f64 v[165:166], v[54:55], v[38:39]
	s_waitcnt lgkmcnt(0)
	s_barrier
	v_fma_f64 v[165:166], v[52:53], v[36:37], v[165:166]
	v_mul_f64 v[36:37], v[54:55], v[36:37]
	v_fma_f64 v[38:39], v[52:53], v[38:39], -v[36:37]
	v_mul_f64 v[36:37], v[50:51], v[46:47]
	v_add_f64 v[38:39], v[34:35], -v[38:39]
	v_fma_f64 v[167:168], v[155:156], v[44:45], v[36:37]
	v_mul_f64 v[36:37], v[50:51], v[44:45]
	v_fma_f64 v[34:35], v[34:35], 2.0, -v[38:39]
	v_add_f64 v[44:45], v[40:41], -v[167:168]
	v_fma_f64 v[46:47], v[155:156], v[46:47], -v[36:37]
	v_mul_f64 v[36:37], v[54:55], v[150:151]
	v_fma_f64 v[40:41], v[40:41], 2.0, -v[44:45]
	v_add_f64 v[46:47], v[42:43], -v[46:47]
	v_fma_f64 v[50:51], v[52:53], v[148:149], v[36:37]
	v_mul_f64 v[36:37], v[54:55], v[148:149]
	v_fma_f64 v[42:43], v[42:43], 2.0, -v[46:47]
	v_fma_f64 v[52:53], v[52:53], v[150:151], -v[36:37]
	v_mul_f64 v[36:37], v[153:154], v[163:164]
	v_fma_f64 v[148:149], v[48:49], v[161:162], v[36:37]
	v_mul_f64 v[36:37], v[153:154], v[161:162]
	v_fma_f64 v[150:151], v[48:49], v[163:164], -v[36:37]
	v_add_f64 v[48:49], v[144:145], -v[50:51]
	v_add_f64 v[50:51], v[146:147], -v[52:53]
	;; [unrolled: 1-line block ×3, first 2 shown]
	v_fma_f64 v[52:53], v[144:145], 2.0, -v[48:49]
	v_fma_f64 v[54:55], v[146:147], 2.0, -v[50:51]
	v_add_f64 v[144:145], v[157:158], -v[148:149]
	v_add_f64 v[146:147], v[159:160], -v[150:151]
	v_fma_f64 v[32:33], v[32:33], 2.0, -v[36:37]
	v_fma_f64 v[148:149], v[157:158], 2.0, -v[144:145]
	;; [unrolled: 1-line block ×3, first 2 shown]
	ds_write_b128 v198, v[32:35]
	ds_write_b128 v198, v[36:39] offset:512
	ds_write_b128 v197, v[40:43]
	ds_write_b128 v197, v[44:47] offset:512
	;; [unrolled: 2-line block ×4, first 2 shown]
	s_waitcnt lgkmcnt(0)
	s_barrier
	ds_read_b128 v[32:35], v169
	ds_read_b128 v[36:39], v169 offset:7168
	ds_read_b128 v[40:43], v169 offset:1792
	;; [unrolled: 1-line block ×7, first 2 shown]
	s_waitcnt lgkmcnt(6)
	v_mul_f64 v[153:154], v[94:95], v[38:39]
	s_waitcnt lgkmcnt(0)
	s_barrier
	v_fma_f64 v[153:154], v[92:93], v[36:37], v[153:154]
	v_mul_f64 v[36:37], v[94:95], v[36:37]
	v_fma_f64 v[38:39], v[92:93], v[38:39], -v[36:37]
	v_mul_f64 v[36:37], v[86:87], v[46:47]
	v_add_f64 v[38:39], v[34:35], -v[38:39]
	v_fma_f64 v[92:93], v[84:85], v[44:45], v[36:37]
	v_mul_f64 v[36:37], v[86:87], v[44:45]
	v_fma_f64 v[84:85], v[84:85], v[46:47], -v[36:37]
	v_mul_f64 v[36:37], v[82:83], v[54:55]
	v_fma_f64 v[46:47], v[34:35], 2.0, -v[38:39]
	v_fma_f64 v[86:87], v[80:81], v[52:53], v[36:37]
	v_mul_f64 v[36:37], v[82:83], v[52:53]
	v_add_f64 v[52:53], v[40:41], -v[92:93]
	v_fma_f64 v[80:81], v[80:81], v[54:55], -v[36:37]
	v_mul_f64 v[36:37], v[74:75], v[150:151]
	v_add_f64 v[54:55], v[42:43], -v[84:85]
	v_fma_f64 v[40:41], v[40:41], 2.0, -v[52:53]
	v_fma_f64 v[82:83], v[72:73], v[148:149], v[36:37]
	v_mul_f64 v[36:37], v[74:75], v[148:149]
	v_add_f64 v[74:75], v[50:51], -v[80:81]
	v_fma_f64 v[42:43], v[42:43], 2.0, -v[54:55]
	v_fma_f64 v[94:95], v[72:73], v[150:151], -v[36:37]
	v_add_f64 v[36:37], v[32:33], -v[153:154]
	v_add_f64 v[72:73], v[48:49], -v[86:87]
	v_fma_f64 v[50:51], v[50:51], 2.0, -v[74:75]
	v_add_f64 v[34:35], v[146:147], -v[94:95]
	v_fma_f64 v[44:45], v[32:33], 2.0, -v[36:37]
	v_add_f64 v[32:33], v[144:145], -v[82:83]
	v_fma_f64 v[48:49], v[48:49], 2.0, -v[72:73]
	v_fma_f64 v[82:83], v[146:147], 2.0, -v[34:35]
	v_fma_f64 v[80:81], v[144:145], 2.0, -v[32:33]
	ds_write_b128 v194, v[44:47]
	ds_write_b128 v194, v[36:39] offset:1024
	ds_write_b128 v193, v[40:43]
	ds_write_b128 v193, v[52:55] offset:1024
	;; [unrolled: 2-line block ×4, first 2 shown]
	s_waitcnt lgkmcnt(0)
	s_barrier
	ds_read_b128 v[36:39], v169
	ds_read_b128 v[80:83], v169 offset:2048
	ds_read_b128 v[72:75], v169 offset:4096
	;; [unrolled: 1-line block ×6, first 2 shown]
	s_and_saveexec_b64 s[4:5], s[0:1]
	s_cbranch_execz .LBB0_7
; %bb.6:
	ds_read_b128 v[32:35], v169 offset:1792
	ds_read_b128 v[120:123], v169 offset:3840
	;; [unrolled: 1-line block ×7, first 2 shown]
.LBB0_7:
	s_or_b64 exec, exec, s[4:5]
	s_waitcnt lgkmcnt(5)
	v_mul_f64 v[84:85], v[106:107], v[82:83]
	v_mul_f64 v[86:87], v[106:107], v[80:81]
	s_waitcnt lgkmcnt(4)
	v_mul_f64 v[92:93], v[102:103], v[74:75]
	v_mul_f64 v[94:95], v[102:103], v[72:73]
	s_waitcnt lgkmcnt(0)
	v_mul_f64 v[102:103], v[114:115], v[54:55]
	s_mov_b32 s14, 0x37e14327
	s_mov_b32 s16, 0xe976ee23
	;; [unrolled: 1-line block ×3, first 2 shown]
	v_fma_f64 v[80:81], v[104:105], v[80:81], v[84:85]
	v_fma_f64 v[82:83], v[104:105], v[82:83], -v[86:87]
	v_fma_f64 v[72:73], v[100:101], v[72:73], v[92:93]
	v_fma_f64 v[74:75], v[100:101], v[74:75], -v[94:95]
	v_mul_f64 v[84:85], v[114:115], v[52:53]
	v_mul_f64 v[86:87], v[98:99], v[46:47]
	;; [unrolled: 1-line block ×7, first 2 shown]
	v_fma_f64 v[52:53], v[112:113], v[52:53], v[102:103]
	v_fma_f64 v[54:55], v[112:113], v[54:55], -v[84:85]
	v_fma_f64 v[44:45], v[96:97], v[44:45], v[86:87]
	v_fma_f64 v[46:47], v[96:97], v[46:47], -v[92:93]
	v_fma_f64 v[48:49], v[108:109], v[48:49], v[94:95]
	v_fma_f64 v[50:51], v[108:109], v[50:51], -v[98:99]
	v_fma_f64 v[40:41], v[88:89], v[40:41], v[100:101]
	v_fma_f64 v[42:43], v[88:89], v[42:43], -v[90:91]
	v_add_f64 v[84:85], v[80:81], v[52:53]
	v_add_f64 v[86:87], v[82:83], v[54:55]
	v_add_f64 v[52:53], v[80:81], -v[52:53]
	v_add_f64 v[54:55], v[82:83], -v[54:55]
	v_add_f64 v[80:81], v[72:73], v[48:49]
	v_add_f64 v[82:83], v[74:75], v[50:51]
	v_add_f64 v[48:49], v[72:73], -v[48:49]
	v_add_f64 v[50:51], v[74:75], -v[50:51]
	;; [unrolled: 4-line block ×4, first 2 shown]
	v_add_f64 v[84:85], v[84:85], -v[72:73]
	v_add_f64 v[86:87], v[86:87], -v[74:75]
	;; [unrolled: 1-line block ×4, first 2 shown]
	v_add_f64 v[92:93], v[40:41], v[48:49]
	v_add_f64 v[94:95], v[42:43], v[50:51]
	v_add_f64 v[96:97], v[40:41], -v[48:49]
	v_add_f64 v[98:99], v[42:43], -v[50:51]
	v_add_f64 v[44:45], v[72:73], v[44:45]
	v_add_f64 v[46:47], v[74:75], v[46:47]
	v_add_f64 v[48:49], v[48:49], -v[52:53]
	v_add_f64 v[50:51], v[50:51], -v[54:55]
	s_mov_b32 s17, 0x3fe11646
	s_mov_b32 s4, 0x429ad128
	v_add_f64 v[40:41], v[52:53], -v[40:41]
	v_add_f64 v[42:43], v[54:55], -v[42:43]
	v_add_f64 v[52:53], v[92:93], v[52:53]
	v_add_f64 v[54:55], v[94:95], v[54:55]
	;; [unrolled: 1-line block ×4, first 2 shown]
	v_mul_f64 v[72:73], v[84:85], s[14:15]
	v_mul_f64 v[74:75], v[86:87], s[14:15]
	;; [unrolled: 1-line block ×6, first 2 shown]
	s_mov_b32 s5, 0xbfebfeb5
	v_mul_f64 v[96:97], v[48:49], s[4:5]
	v_mul_f64 v[98:99], v[50:51], s[4:5]
	s_mov_b32 s24, 0xaaaaaaaa
	s_mov_b32 s12, 0x5476071b
	;; [unrolled: 1-line block ×8, first 2 shown]
	v_fma_f64 v[44:45], v[44:45], s[24:25], v[36:37]
	v_fma_f64 v[46:47], v[46:47], s[24:25], v[38:39]
	;; [unrolled: 1-line block ×4, first 2 shown]
	v_fma_f64 v[84:85], v[88:89], s[12:13], -v[84:85]
	v_fma_f64 v[86:87], v[90:91], s[12:13], -v[86:87]
	;; [unrolled: 1-line block ×4, first 2 shown]
	v_fma_f64 v[88:89], v[40:41], s[26:27], v[92:93]
	v_fma_f64 v[90:91], v[42:43], s[26:27], v[94:95]
	s_mov_b32 s23, 0x3fd5d0dc
	s_mov_b32 s22, s26
	v_fma_f64 v[40:41], v[40:41], s[22:23], -v[96:97]
	v_fma_f64 v[42:43], v[42:43], s[22:23], -v[98:99]
	v_fma_f64 v[48:49], v[48:49], s[4:5], -v[92:93]
	v_fma_f64 v[50:51], v[50:51], s[4:5], -v[94:95]
	s_mov_b32 s20, 0x37c3f68c
	s_mov_b32 s21, 0xbfdc38aa
	v_add_f64 v[80:81], v[80:81], v[44:45]
	v_add_f64 v[82:83], v[82:83], v[46:47]
	v_fma_f64 v[90:91], v[54:55], s[20:21], v[90:91]
	v_fma_f64 v[88:89], v[52:53], s[20:21], v[88:89]
	v_add_f64 v[72:73], v[72:73], v[44:45]
	v_add_f64 v[74:75], v[74:75], v[46:47]
	v_fma_f64 v[92:93], v[54:55], s[20:21], v[42:43]
	v_fma_f64 v[94:95], v[52:53], s[20:21], v[40:41]
	;; [unrolled: 4-line block ×3, first 2 shown]
	v_add_f64 v[40:41], v[90:91], v[80:81]
	v_add_f64 v[42:43], v[82:83], -v[88:89]
	v_add_f64 v[44:45], v[92:93], v[72:73]
	v_add_f64 v[46:47], v[74:75], -v[94:95]
	v_add_f64 v[72:73], v[72:73], -v[92:93]
	v_add_f64 v[74:75], v[94:95], v[74:75]
	v_add_f64 v[48:49], v[84:85], -v[54:55]
	v_add_f64 v[50:51], v[96:97], v[86:87]
	v_add_f64 v[52:53], v[54:55], v[84:85]
	v_add_f64 v[54:55], v[86:87], -v[96:97]
	v_add_f64 v[80:81], v[80:81], -v[90:91]
	v_add_f64 v[82:83], v[88:89], v[82:83]
	ds_write_b128 v169, v[36:39]
	ds_write_b128 v169, v[40:43] offset:2048
	ds_write_b128 v169, v[44:47] offset:4096
	ds_write_b128 v169, v[48:51] offset:6144
	ds_write_b128 v169, v[52:55] offset:8192
	ds_write_b128 v169, v[72:75] offset:10240
	ds_write_b128 v169, v[80:83] offset:12288
	s_and_saveexec_b64 s[28:29], s[0:1]
	s_cbranch_execz .LBB0_9
; %bb.8:
	v_mul_f64 v[44:45], v[78:79], v[140:141]
	v_mul_f64 v[46:47], v[70:71], v[120:121]
	;; [unrolled: 1-line block ×8, first 2 shown]
	v_fma_f64 v[44:45], v[76:77], v[142:143], -v[44:45]
	v_fma_f64 v[46:47], v[68:69], v[122:123], -v[46:47]
	v_mul_f64 v[62:63], v[62:63], v[128:129]
	v_mul_f64 v[58:59], v[58:59], v[132:133]
	v_fma_f64 v[48:49], v[116:117], v[138:139], -v[48:49]
	v_fma_f64 v[50:51], v[64:65], v[126:127], -v[50:51]
	v_mul_f64 v[40:41], v[70:71], v[122:123]
	v_mul_f64 v[42:43], v[78:79], v[142:143]
	v_fma_f64 v[36:37], v[56:57], v[132:133], v[36:37]
	v_fma_f64 v[38:39], v[60:61], v[128:129], v[38:39]
	;; [unrolled: 1-line block ×4, first 2 shown]
	v_fma_f64 v[60:61], v[60:61], v[130:131], -v[62:63]
	v_fma_f64 v[56:57], v[56:57], v[134:135], -v[58:59]
	v_add_f64 v[58:59], v[46:47], v[44:45]
	v_add_f64 v[62:63], v[50:51], v[48:49]
	v_fma_f64 v[40:41], v[68:69], v[120:121], v[40:41]
	v_fma_f64 v[42:43], v[76:77], v[140:141], v[42:43]
	v_add_f64 v[64:65], v[36:37], -v[38:39]
	v_add_f64 v[66:67], v[52:53], -v[54:55]
	v_add_f64 v[36:37], v[38:39], v[36:37]
	v_add_f64 v[68:69], v[60:61], v[56:57]
	v_add_f64 v[56:57], v[56:57], -v[60:61]
	v_add_f64 v[70:71], v[62:63], v[58:59]
	v_add_f64 v[48:49], v[50:51], -v[48:49]
	v_add_f64 v[72:73], v[40:41], -v[42:43]
	v_add_f64 v[40:41], v[40:41], v[42:43]
	v_add_f64 v[74:75], v[64:65], -v[66:67]
	v_add_f64 v[42:43], v[52:53], v[54:55]
	v_add_f64 v[52:53], v[58:59], -v[68:69]
	v_add_f64 v[38:39], v[68:69], -v[62:63]
	v_add_f64 v[54:55], v[68:69], v[70:71]
	v_add_f64 v[44:45], v[46:47], -v[44:45]
	v_add_f64 v[70:71], v[72:73], -v[64:65]
	v_add_f64 v[64:65], v[64:65], v[66:67]
	v_mul_f64 v[74:75], v[74:75], s[16:17]
	v_add_f64 v[76:77], v[42:43], v[40:41]
	v_mul_f64 v[52:53], v[52:53], s[14:15]
	v_add_f64 v[46:47], v[40:41], -v[36:37]
	v_add_f64 v[34:35], v[34:35], v[54:55]
	v_add_f64 v[50:51], v[66:67], -v[72:73]
	v_add_f64 v[80:81], v[48:49], -v[44:45]
	v_add_f64 v[64:65], v[64:65], v[72:73]
	v_add_f64 v[72:73], v[56:57], -v[48:49]
	v_add_f64 v[68:69], v[36:37], v[76:77]
	v_fma_f64 v[76:77], v[70:71], s[26:27], v[74:75]
	v_fma_f64 v[78:79], v[38:39], s[6:7], v[52:53]
	;; [unrolled: 1-line block ×3, first 2 shown]
	v_add_f64 v[36:37], v[36:37], -v[42:43]
	v_add_f64 v[58:59], v[62:63], -v[58:59]
	v_mul_f64 v[46:47], v[46:47], s[14:15]
	v_mul_f64 v[72:73], v[72:73], s[16:17]
	v_add_f64 v[32:33], v[32:33], v[68:69]
	v_fma_f64 v[60:61], v[64:65], s[20:21], v[76:77]
	v_mul_f64 v[76:77], v[50:51], s[4:5]
	v_add_f64 v[66:67], v[78:79], v[54:55]
	v_add_f64 v[78:79], v[44:45], -v[56:57]
	v_add_f64 v[48:49], v[56:57], v[48:49]
	v_add_f64 v[40:41], v[42:43], -v[40:41]
	v_mul_f64 v[42:43], v[80:81], s[4:5]
	v_mul_f64 v[62:63], v[38:39], s[6:7]
	;; [unrolled: 1-line block ×3, first 2 shown]
	v_fma_f64 v[68:69], v[68:69], s[24:25], v[32:33]
	v_fma_f64 v[36:37], v[36:37], s[6:7], v[46:47]
	v_fma_f64 v[70:71], v[70:71], s[22:23], -v[76:77]
	v_fma_f64 v[52:53], v[58:59], s[18:19], -v[52:53]
	v_fma_f64 v[76:77], v[78:79], s[26:27], v[72:73]
	v_add_f64 v[44:45], v[48:49], v[44:45]
	v_fma_f64 v[50:51], v[50:51], s[4:5], -v[74:75]
	v_fma_f64 v[46:47], v[40:41], s[18:19], -v[46:47]
	;; [unrolled: 1-line block ×6, first 2 shown]
	v_fma_f64 v[58:59], v[64:65], s[20:21], v[70:71]
	v_add_f64 v[52:53], v[52:53], v[54:55]
	v_add_f64 v[36:37], v[36:37], v[68:69]
	v_fma_f64 v[62:63], v[44:45], s[20:21], v[76:77]
	v_fma_f64 v[50:51], v[64:65], s[20:21], v[50:51]
	v_add_f64 v[64:65], v[46:47], v[68:69]
	v_fma_f64 v[70:71], v[44:45], s[20:21], v[42:43]
	v_add_f64 v[48:49], v[48:49], v[54:55]
	v_add_f64 v[40:41], v[40:41], v[68:69]
	v_fma_f64 v[44:45], v[44:45], s[20:21], v[56:57]
	v_add_f64 v[42:43], v[58:59], v[52:53]
	v_add_f64 v[54:55], v[52:53], -v[58:59]
	v_add_f64 v[58:59], v[66:67], -v[60:61]
	v_add_f64 v[56:57], v[62:63], v[36:37]
	v_add_f64 v[52:53], v[70:71], v[64:65]
	v_add_f64 v[46:47], v[48:49], -v[50:51]
	v_add_f64 v[50:51], v[50:51], v[48:49]
	v_add_f64 v[48:49], v[40:41], -v[44:45]
	;; [unrolled: 2-line block ×4, first 2 shown]
	ds_write_b128 v169, v[32:35] offset:1792
	ds_write_b128 v169, v[56:59] offset:3840
	;; [unrolled: 1-line block ×7, first 2 shown]
.LBB0_9:
	s_or_b64 exec, exec, s[28:29]
	s_waitcnt lgkmcnt(0)
	s_barrier
	ds_read_b128 v[32:35], v169
	ds_read_b128 v[36:39], v169 offset:1792
	v_mad_u64_u32 v[40:41], s[0:1], s10, v152, 0
	v_mov_b32_e32 v50, s3
	s_waitcnt lgkmcnt(1)
	v_mul_f64 v[42:43], v[26:27], v[34:35]
	v_mul_f64 v[26:27], v[26:27], v[32:33]
	s_mul_hi_u32 s3, s8, 0x1c00
	v_mad_u64_u32 v[44:45], s[0:1], s11, v152, v[41:42]
	v_fma_f64 v[32:33], v[24:25], v[32:33], v[42:43]
	v_fma_f64 v[26:27], v[24:25], v[34:35], -v[26:27]
	v_mov_b32_e32 v41, v44
	v_mad_u64_u32 v[44:45], s[0:1], s8, v170, 0
	s_mov_b32 s0, 0x92492492
	s_mov_b32 s1, 0x3f524924
	v_mov_b32_e32 v24, v45
	v_mad_u64_u32 v[42:43], s[4:5], s9, v170, v[24:25]
	v_mul_f64 v[24:25], v[32:33], s[0:1]
	ds_read_b128 v[32:35], v169 offset:7168
	v_mov_b32_e32 v45, v42
	v_lshlrev_b64 v[46:47], 4, v[40:41]
	ds_read_b128 v[40:43], v169 offset:8960
	v_mul_f64 v[26:27], v[26:27], s[0:1]
	s_waitcnt lgkmcnt(1)
	v_mul_f64 v[48:49], v[2:3], v[34:35]
	v_mul_f64 v[2:3], v[2:3], v[32:33]
	v_add_co_u32_e32 v46, vcc, s2, v46
	v_lshlrev_b64 v[44:45], 4, v[44:45]
	v_addc_co_u32_e32 v47, vcc, v50, v47, vcc
	s_mul_i32 s2, s9, 0x1c00
	v_fma_f64 v[32:33], v[0:1], v[32:33], v[48:49]
	v_fma_f64 v[2:3], v[0:1], v[34:35], -v[2:3]
	v_add_co_u32_e32 v34, vcc, v46, v44
	v_addc_co_u32_e32 v35, vcc, v47, v45, vcc
	global_store_dwordx4 v[34:35], v[24:27], off
	s_add_i32 s2, s3, s2
	v_mul_f64 v[24:25], v[18:19], v[38:39]
	v_mul_f64 v[18:19], v[18:19], v[36:37]
	;; [unrolled: 1-line block ×4, first 2 shown]
	s_mul_i32 s3, s8, 0x1c00
	v_add_co_u32_e32 v32, vcc, s3, v34
	s_waitcnt lgkmcnt(0)
	v_mul_f64 v[26:27], v[30:31], v[40:41]
	v_fma_f64 v[24:25], v[16:17], v[36:37], v[24:25]
	v_fma_f64 v[16:17], v[16:17], v[38:39], -v[18:19]
	v_mov_b32_e32 v18, s2
	v_addc_co_u32_e32 v33, vcc, v35, v18, vcc
	global_store_dwordx4 v[32:33], v[0:3], off
	s_mul_hi_u32 s5, s8, 0xffffeb00
	s_mul_i32 s4, s9, 0xffffeb00
	v_mul_f64 v[0:1], v[24:25], s[0:1]
	v_mul_f64 v[24:25], v[30:31], v[42:43]
	;; [unrolled: 1-line block ×3, first 2 shown]
	ds_read_b128 v[16:19], v169 offset:3584
	s_sub_i32 s5, s5, s8
	s_add_i32 s4, s5, s4
	s_mul_i32 s5, s8, 0xffffeb00
	v_mov_b32_e32 v36, s4
	v_add_co_u32_e32 v32, vcc, s5, v32
	v_fma_f64 v[30:31], v[28:29], v[40:41], v[24:25]
	v_fma_f64 v[28:29], v[28:29], v[42:43], -v[26:27]
	ds_read_b128 v[24:27], v169 offset:5376
	s_waitcnt lgkmcnt(1)
	v_mul_f64 v[34:35], v[10:11], v[18:19]
	v_mul_f64 v[10:11], v[10:11], v[16:17]
	v_addc_co_u32_e32 v33, vcc, v33, v36, vcc
	global_store_dwordx4 v[32:33], v[0:3], off
	v_mov_b32_e32 v36, s2
	v_mul_f64 v[0:1], v[30:31], s[0:1]
	v_mul_f64 v[2:3], v[28:29], s[0:1]
	ds_read_b128 v[28:31], v169 offset:10752
	v_fma_f64 v[16:17], v[8:9], v[16:17], v[34:35]
	v_fma_f64 v[18:19], v[8:9], v[18:19], -v[10:11]
	ds_read_b128 v[8:11], v169 offset:12544
	v_add_co_u32_e32 v32, vcc, s3, v32
	s_waitcnt lgkmcnt(1)
	v_mul_f64 v[34:35], v[6:7], v[30:31]
	v_mul_f64 v[6:7], v[6:7], v[28:29]
	v_addc_co_u32_e32 v33, vcc, v33, v36, vcc
	global_store_dwordx4 v[32:33], v[0:3], off
	s_nop 0
	v_mul_f64 v[0:1], v[16:17], s[0:1]
	v_mul_f64 v[2:3], v[18:19], s[0:1]
	v_mov_b32_e32 v18, s4
	v_fma_f64 v[16:17], v[4:5], v[28:29], v[34:35]
	v_fma_f64 v[4:5], v[4:5], v[30:31], -v[6:7]
	v_add_co_u32_e32 v6, vcc, s5, v32
	v_addc_co_u32_e32 v7, vcc, v33, v18, vcc
	v_mul_f64 v[18:19], v[14:15], v[26:27]
	v_mul_f64 v[14:15], v[14:15], v[24:25]
	s_waitcnt lgkmcnt(0)
	v_mul_f64 v[28:29], v[22:23], v[10:11]
	v_mul_f64 v[22:23], v[22:23], v[8:9]
	global_store_dwordx4 v[6:7], v[0:3], off
	v_fma_f64 v[8:9], v[20:21], v[8:9], v[28:29]
	v_mul_f64 v[0:1], v[16:17], s[0:1]
	v_mul_f64 v[2:3], v[4:5], s[0:1]
	v_fma_f64 v[4:5], v[12:13], v[24:25], v[18:19]
	v_fma_f64 v[12:13], v[12:13], v[26:27], -v[14:15]
	v_fma_f64 v[10:11], v[20:21], v[10:11], -v[22:23]
	v_mov_b32_e32 v16, s2
	v_add_co_u32_e32 v14, vcc, s3, v6
	v_addc_co_u32_e32 v15, vcc, v7, v16, vcc
	global_store_dwordx4 v[14:15], v[0:3], off
	v_mul_f64 v[6:7], v[10:11], s[0:1]
	v_mul_f64 v[0:1], v[4:5], s[0:1]
	;; [unrolled: 1-line block ×4, first 2 shown]
	v_mov_b32_e32 v12, s4
	v_add_co_u32_e32 v8, vcc, s5, v14
	v_addc_co_u32_e32 v9, vcc, v15, v12, vcc
	global_store_dwordx4 v[8:9], v[0:3], off
	s_nop 0
	v_mov_b32_e32 v1, s2
	v_add_co_u32_e32 v0, vcc, s3, v8
	v_addc_co_u32_e32 v1, vcc, v9, v1, vcc
	global_store_dwordx4 v[0:1], v[4:7], off
.LBB0_10:
	s_endpgm
	.section	.rodata,"a",@progbits
	.p2align	6, 0x0
	.amdhsa_kernel bluestein_single_fwd_len896_dim1_dp_op_CI_CI
		.amdhsa_group_segment_fixed_size 14336
		.amdhsa_private_segment_fixed_size 0
		.amdhsa_kernarg_size 104
		.amdhsa_user_sgpr_count 6
		.amdhsa_user_sgpr_private_segment_buffer 1
		.amdhsa_user_sgpr_dispatch_ptr 0
		.amdhsa_user_sgpr_queue_ptr 0
		.amdhsa_user_sgpr_kernarg_segment_ptr 1
		.amdhsa_user_sgpr_dispatch_id 0
		.amdhsa_user_sgpr_flat_scratch_init 0
		.amdhsa_user_sgpr_private_segment_size 0
		.amdhsa_uses_dynamic_stack 0
		.amdhsa_system_sgpr_private_segment_wavefront_offset 0
		.amdhsa_system_sgpr_workgroup_id_x 1
		.amdhsa_system_sgpr_workgroup_id_y 0
		.amdhsa_system_sgpr_workgroup_id_z 0
		.amdhsa_system_sgpr_workgroup_info 0
		.amdhsa_system_vgpr_workitem_id 0
		.amdhsa_next_free_vgpr 231
		.amdhsa_next_free_sgpr 30
		.amdhsa_reserve_vcc 1
		.amdhsa_reserve_flat_scratch 0
		.amdhsa_float_round_mode_32 0
		.amdhsa_float_round_mode_16_64 0
		.amdhsa_float_denorm_mode_32 3
		.amdhsa_float_denorm_mode_16_64 3
		.amdhsa_dx10_clamp 1
		.amdhsa_ieee_mode 1
		.amdhsa_fp16_overflow 0
		.amdhsa_exception_fp_ieee_invalid_op 0
		.amdhsa_exception_fp_denorm_src 0
		.amdhsa_exception_fp_ieee_div_zero 0
		.amdhsa_exception_fp_ieee_overflow 0
		.amdhsa_exception_fp_ieee_underflow 0
		.amdhsa_exception_fp_ieee_inexact 0
		.amdhsa_exception_int_div_zero 0
	.end_amdhsa_kernel
	.text
.Lfunc_end0:
	.size	bluestein_single_fwd_len896_dim1_dp_op_CI_CI, .Lfunc_end0-bluestein_single_fwd_len896_dim1_dp_op_CI_CI
                                        ; -- End function
	.section	.AMDGPU.csdata,"",@progbits
; Kernel info:
; codeLenInByte = 12512
; NumSgprs: 34
; NumVgprs: 231
; ScratchSize: 0
; MemoryBound: 0
; FloatMode: 240
; IeeeMode: 1
; LDSByteSize: 14336 bytes/workgroup (compile time only)
; SGPRBlocks: 4
; VGPRBlocks: 57
; NumSGPRsForWavesPerEU: 34
; NumVGPRsForWavesPerEU: 231
; Occupancy: 1
; WaveLimiterHint : 1
; COMPUTE_PGM_RSRC2:SCRATCH_EN: 0
; COMPUTE_PGM_RSRC2:USER_SGPR: 6
; COMPUTE_PGM_RSRC2:TRAP_HANDLER: 0
; COMPUTE_PGM_RSRC2:TGID_X_EN: 1
; COMPUTE_PGM_RSRC2:TGID_Y_EN: 0
; COMPUTE_PGM_RSRC2:TGID_Z_EN: 0
; COMPUTE_PGM_RSRC2:TIDIG_COMP_CNT: 0
	.type	__hip_cuid_a74d7327e7743800,@object ; @__hip_cuid_a74d7327e7743800
	.section	.bss,"aw",@nobits
	.globl	__hip_cuid_a74d7327e7743800
__hip_cuid_a74d7327e7743800:
	.byte	0                               ; 0x0
	.size	__hip_cuid_a74d7327e7743800, 1

	.ident	"AMD clang version 19.0.0git (https://github.com/RadeonOpenCompute/llvm-project roc-6.4.0 25133 c7fe45cf4b819c5991fe208aaa96edf142730f1d)"
	.section	".note.GNU-stack","",@progbits
	.addrsig
	.addrsig_sym __hip_cuid_a74d7327e7743800
	.amdgpu_metadata
---
amdhsa.kernels:
  - .args:
      - .actual_access:  read_only
        .address_space:  global
        .offset:         0
        .size:           8
        .value_kind:     global_buffer
      - .actual_access:  read_only
        .address_space:  global
        .offset:         8
        .size:           8
        .value_kind:     global_buffer
      - .actual_access:  read_only
        .address_space:  global
        .offset:         16
        .size:           8
        .value_kind:     global_buffer
      - .actual_access:  read_only
        .address_space:  global
        .offset:         24
        .size:           8
        .value_kind:     global_buffer
      - .actual_access:  read_only
        .address_space:  global
        .offset:         32
        .size:           8
        .value_kind:     global_buffer
      - .offset:         40
        .size:           8
        .value_kind:     by_value
      - .address_space:  global
        .offset:         48
        .size:           8
        .value_kind:     global_buffer
      - .address_space:  global
        .offset:         56
        .size:           8
        .value_kind:     global_buffer
      - .address_space:  global
        .offset:         64
        .size:           8
        .value_kind:     global_buffer
      - .address_space:  global
        .offset:         72
        .size:           8
        .value_kind:     global_buffer
      - .offset:         80
        .size:           4
        .value_kind:     by_value
      - .address_space:  global
        .offset:         88
        .size:           8
        .value_kind:     global_buffer
      - .address_space:  global
        .offset:         96
        .size:           8
        .value_kind:     global_buffer
    .group_segment_fixed_size: 14336
    .kernarg_segment_align: 8
    .kernarg_segment_size: 104
    .language:       OpenCL C
    .language_version:
      - 2
      - 0
    .max_flat_workgroup_size: 112
    .name:           bluestein_single_fwd_len896_dim1_dp_op_CI_CI
    .private_segment_fixed_size: 0
    .sgpr_count:     34
    .sgpr_spill_count: 0
    .symbol:         bluestein_single_fwd_len896_dim1_dp_op_CI_CI.kd
    .uniform_work_group_size: 1
    .uses_dynamic_stack: false
    .vgpr_count:     231
    .vgpr_spill_count: 0
    .wavefront_size: 64
amdhsa.target:   amdgcn-amd-amdhsa--gfx906
amdhsa.version:
  - 1
  - 2
...

	.end_amdgpu_metadata
